;; amdgpu-corpus repo=ROCm/rocFFT kind=compiled arch=gfx906 opt=O3
	.text
	.amdgcn_target "amdgcn-amd-amdhsa--gfx906"
	.amdhsa_code_object_version 6
	.protected	fft_rtc_fwd_len1296_factors_6_6_6_6_wgs_108_tpt_108_halfLds_dp_op_CI_CI_unitstride_sbrr_R2C_dirReg ; -- Begin function fft_rtc_fwd_len1296_factors_6_6_6_6_wgs_108_tpt_108_halfLds_dp_op_CI_CI_unitstride_sbrr_R2C_dirReg
	.globl	fft_rtc_fwd_len1296_factors_6_6_6_6_wgs_108_tpt_108_halfLds_dp_op_CI_CI_unitstride_sbrr_R2C_dirReg
	.p2align	8
	.type	fft_rtc_fwd_len1296_factors_6_6_6_6_wgs_108_tpt_108_halfLds_dp_op_CI_CI_unitstride_sbrr_R2C_dirReg,@function
fft_rtc_fwd_len1296_factors_6_6_6_6_wgs_108_tpt_108_halfLds_dp_op_CI_CI_unitstride_sbrr_R2C_dirReg: ; @fft_rtc_fwd_len1296_factors_6_6_6_6_wgs_108_tpt_108_halfLds_dp_op_CI_CI_unitstride_sbrr_R2C_dirReg
; %bb.0:
	s_load_dwordx4 s[8:11], s[4:5], 0x58
	s_load_dwordx4 s[12:15], s[4:5], 0x0
	;; [unrolled: 1-line block ×3, first 2 shown]
	v_mul_u32_u24_e32 v1, 0x25f, v0
	v_add_u32_sdwa v5, s6, v1 dst_sel:DWORD dst_unused:UNUSED_PAD src0_sel:DWORD src1_sel:WORD_1
	v_mov_b32_e32 v3, 0
	s_waitcnt lgkmcnt(0)
	v_cmp_lt_u64_e64 s[0:1], s[14:15], 2
	v_mov_b32_e32 v1, 0
	v_mov_b32_e32 v6, v3
	s_and_b64 vcc, exec, s[0:1]
	v_mov_b32_e32 v2, 0
	s_cbranch_vccnz .LBB0_8
; %bb.1:
	s_load_dwordx2 s[0:1], s[4:5], 0x10
	s_add_u32 s2, s18, 8
	s_addc_u32 s3, s19, 0
	s_add_u32 s6, s16, 8
	v_mov_b32_e32 v1, 0
	s_addc_u32 s7, s17, 0
	v_mov_b32_e32 v2, 0
	s_waitcnt lgkmcnt(0)
	s_add_u32 s20, s0, 8
	v_mov_b32_e32 v9, v2
	s_addc_u32 s21, s1, 0
	s_mov_b64 s[22:23], 1
	v_mov_b32_e32 v8, v1
.LBB0_2:                                ; =>This Inner Loop Header: Depth=1
	s_load_dwordx2 s[24:25], s[20:21], 0x0
                                        ; implicit-def: $vgpr12_vgpr13
	s_waitcnt lgkmcnt(0)
	v_or_b32_e32 v4, s25, v6
	v_cmp_ne_u64_e32 vcc, 0, v[3:4]
	s_and_saveexec_b64 s[0:1], vcc
	s_xor_b64 s[26:27], exec, s[0:1]
	s_cbranch_execz .LBB0_4
; %bb.3:                                ;   in Loop: Header=BB0_2 Depth=1
	v_cvt_f32_u32_e32 v4, s24
	v_cvt_f32_u32_e32 v7, s25
	s_sub_u32 s0, 0, s24
	s_subb_u32 s1, 0, s25
	v_mac_f32_e32 v4, 0x4f800000, v7
	v_rcp_f32_e32 v4, v4
	v_mul_f32_e32 v4, 0x5f7ffffc, v4
	v_mul_f32_e32 v7, 0x2f800000, v4
	v_trunc_f32_e32 v7, v7
	v_mac_f32_e32 v4, 0xcf800000, v7
	v_cvt_u32_f32_e32 v7, v7
	v_cvt_u32_f32_e32 v4, v4
	v_mul_lo_u32 v10, s0, v7
	v_mul_hi_u32 v11, s0, v4
	v_mul_lo_u32 v13, s1, v4
	v_mul_lo_u32 v12, s0, v4
	v_add_u32_e32 v10, v11, v10
	v_add_u32_e32 v10, v10, v13
	v_mul_hi_u32 v11, v4, v12
	v_mul_lo_u32 v13, v4, v10
	v_mul_hi_u32 v15, v4, v10
	v_mul_hi_u32 v14, v7, v12
	v_mul_lo_u32 v12, v7, v12
	v_mul_hi_u32 v16, v7, v10
	v_add_co_u32_e32 v11, vcc, v11, v13
	v_addc_co_u32_e32 v13, vcc, 0, v15, vcc
	v_mul_lo_u32 v10, v7, v10
	v_add_co_u32_e32 v11, vcc, v11, v12
	v_addc_co_u32_e32 v11, vcc, v13, v14, vcc
	v_addc_co_u32_e32 v12, vcc, 0, v16, vcc
	v_add_co_u32_e32 v10, vcc, v11, v10
	v_addc_co_u32_e32 v11, vcc, 0, v12, vcc
	v_add_co_u32_e32 v4, vcc, v4, v10
	v_addc_co_u32_e32 v7, vcc, v7, v11, vcc
	v_mul_lo_u32 v10, s0, v7
	v_mul_hi_u32 v11, s0, v4
	v_mul_lo_u32 v12, s1, v4
	v_mul_lo_u32 v13, s0, v4
	v_add_u32_e32 v10, v11, v10
	v_add_u32_e32 v10, v10, v12
	v_mul_lo_u32 v14, v4, v10
	v_mul_hi_u32 v15, v4, v13
	v_mul_hi_u32 v16, v4, v10
	v_mul_hi_u32 v12, v7, v13
	v_mul_lo_u32 v13, v7, v13
	v_mul_hi_u32 v11, v7, v10
	v_add_co_u32_e32 v14, vcc, v15, v14
	v_addc_co_u32_e32 v15, vcc, 0, v16, vcc
	v_mul_lo_u32 v10, v7, v10
	v_add_co_u32_e32 v13, vcc, v14, v13
	v_addc_co_u32_e32 v12, vcc, v15, v12, vcc
	v_addc_co_u32_e32 v11, vcc, 0, v11, vcc
	v_add_co_u32_e32 v10, vcc, v12, v10
	v_addc_co_u32_e32 v11, vcc, 0, v11, vcc
	v_add_co_u32_e32 v4, vcc, v4, v10
	v_addc_co_u32_e32 v7, vcc, v7, v11, vcc
	v_mad_u64_u32 v[10:11], s[0:1], v5, v7, 0
	v_mul_hi_u32 v12, v5, v4
	v_add_co_u32_e32 v14, vcc, v12, v10
	v_addc_co_u32_e32 v15, vcc, 0, v11, vcc
	v_mad_u64_u32 v[10:11], s[0:1], v6, v4, 0
	v_mad_u64_u32 v[12:13], s[0:1], v6, v7, 0
	v_add_co_u32_e32 v4, vcc, v14, v10
	v_addc_co_u32_e32 v4, vcc, v15, v11, vcc
	v_addc_co_u32_e32 v7, vcc, 0, v13, vcc
	v_add_co_u32_e32 v4, vcc, v4, v12
	v_addc_co_u32_e32 v7, vcc, 0, v7, vcc
	v_mul_lo_u32 v12, s25, v4
	v_mul_lo_u32 v13, s24, v7
	v_mad_u64_u32 v[10:11], s[0:1], s24, v4, 0
	v_add3_u32 v11, v11, v13, v12
	v_sub_u32_e32 v12, v6, v11
	v_mov_b32_e32 v13, s25
	v_sub_co_u32_e32 v10, vcc, v5, v10
	v_subb_co_u32_e64 v12, s[0:1], v12, v13, vcc
	v_subrev_co_u32_e64 v13, s[0:1], s24, v10
	v_subbrev_co_u32_e64 v12, s[0:1], 0, v12, s[0:1]
	v_cmp_le_u32_e64 s[0:1], s25, v12
	v_cndmask_b32_e64 v14, 0, -1, s[0:1]
	v_cmp_le_u32_e64 s[0:1], s24, v13
	v_cndmask_b32_e64 v13, 0, -1, s[0:1]
	v_cmp_eq_u32_e64 s[0:1], s25, v12
	v_cndmask_b32_e64 v12, v14, v13, s[0:1]
	v_add_co_u32_e64 v14, s[0:1], 2, v4
	v_addc_co_u32_e64 v13, s[0:1], 0, v7, s[0:1]
	v_add_co_u32_e64 v15, s[0:1], 1, v4
	v_addc_co_u32_e64 v16, s[0:1], 0, v7, s[0:1]
	v_subb_co_u32_e32 v11, vcc, v6, v11, vcc
	v_cmp_ne_u32_e64 s[0:1], 0, v12
	v_cmp_le_u32_e32 vcc, s25, v11
	v_cndmask_b32_e64 v12, v16, v13, s[0:1]
	v_cndmask_b32_e64 v13, 0, -1, vcc
	v_cmp_le_u32_e32 vcc, s24, v10
	v_cndmask_b32_e64 v10, 0, -1, vcc
	v_cmp_eq_u32_e32 vcc, s25, v11
	v_cndmask_b32_e32 v10, v13, v10, vcc
	v_cmp_ne_u32_e32 vcc, 0, v10
	v_cndmask_b32_e32 v13, v7, v12, vcc
	v_cndmask_b32_e64 v7, v15, v14, s[0:1]
	v_cndmask_b32_e32 v12, v4, v7, vcc
.LBB0_4:                                ;   in Loop: Header=BB0_2 Depth=1
	s_andn2_saveexec_b64 s[0:1], s[26:27]
	s_cbranch_execz .LBB0_6
; %bb.5:                                ;   in Loop: Header=BB0_2 Depth=1
	v_cvt_f32_u32_e32 v4, s24
	s_sub_i32 s26, 0, s24
	v_mov_b32_e32 v13, v3
	v_rcp_iflag_f32_e32 v4, v4
	v_mul_f32_e32 v4, 0x4f7ffffe, v4
	v_cvt_u32_f32_e32 v4, v4
	v_mul_lo_u32 v7, s26, v4
	v_mul_hi_u32 v7, v4, v7
	v_add_u32_e32 v4, v4, v7
	v_mul_hi_u32 v4, v5, v4
	v_mul_lo_u32 v7, v4, s24
	v_add_u32_e32 v10, 1, v4
	v_sub_u32_e32 v7, v5, v7
	v_subrev_u32_e32 v11, s24, v7
	v_cmp_le_u32_e32 vcc, s24, v7
	v_cndmask_b32_e32 v7, v7, v11, vcc
	v_cndmask_b32_e32 v4, v4, v10, vcc
	v_add_u32_e32 v10, 1, v4
	v_cmp_le_u32_e32 vcc, s24, v7
	v_cndmask_b32_e32 v12, v4, v10, vcc
.LBB0_6:                                ;   in Loop: Header=BB0_2 Depth=1
	s_or_b64 exec, exec, s[0:1]
	v_mul_lo_u32 v4, v13, s24
	v_mul_lo_u32 v7, v12, s25
	v_mad_u64_u32 v[10:11], s[0:1], v12, s24, 0
	s_load_dwordx2 s[0:1], s[6:7], 0x0
	s_load_dwordx2 s[24:25], s[2:3], 0x0
	v_add3_u32 v4, v11, v7, v4
	v_sub_co_u32_e32 v5, vcc, v5, v10
	v_subb_co_u32_e32 v4, vcc, v6, v4, vcc
	s_waitcnt lgkmcnt(0)
	v_mul_lo_u32 v6, s0, v4
	v_mul_lo_u32 v7, s1, v5
	v_mad_u64_u32 v[1:2], s[0:1], s0, v5, v[1:2]
	v_mul_lo_u32 v4, s24, v4
	v_mul_lo_u32 v10, s25, v5
	v_mad_u64_u32 v[8:9], s[0:1], s24, v5, v[8:9]
	s_add_u32 s22, s22, 1
	s_addc_u32 s23, s23, 0
	s_add_u32 s2, s2, 8
	v_add3_u32 v9, v10, v9, v4
	s_addc_u32 s3, s3, 0
	v_mov_b32_e32 v4, s14
	s_add_u32 s6, s6, 8
	v_mov_b32_e32 v5, s15
	s_addc_u32 s7, s7, 0
	v_cmp_ge_u64_e32 vcc, s[22:23], v[4:5]
	s_add_u32 s20, s20, 8
	v_add3_u32 v2, v7, v2, v6
	s_addc_u32 s21, s21, 0
	s_cbranch_vccnz .LBB0_9
; %bb.7:                                ;   in Loop: Header=BB0_2 Depth=1
	v_mov_b32_e32 v5, v12
	v_mov_b32_e32 v6, v13
	s_branch .LBB0_2
.LBB0_8:
	v_mov_b32_e32 v9, v2
	v_mov_b32_e32 v13, v6
	;; [unrolled: 1-line block ×4, first 2 shown]
.LBB0_9:
	s_load_dwordx2 s[4:5], s[4:5], 0x28
	s_lshl_b64 s[6:7], s[14:15], 3
	s_add_u32 s2, s18, s6
	s_addc_u32 s3, s19, s7
                                        ; implicit-def: $vgpr10
                                        ; implicit-def: $vgpr14
	s_waitcnt lgkmcnt(0)
	v_cmp_gt_u64_e64 s[0:1], s[4:5], v[12:13]
	v_cmp_le_u64_e32 vcc, s[4:5], v[12:13]
	s_and_saveexec_b64 s[4:5], vcc
	s_xor_b64 s[4:5], exec, s[4:5]
; %bb.10:
	s_mov_b32 s14, 0x25ed098
	v_mul_hi_u32 v1, v0, s14
	v_mul_u32_u24_e32 v1, 0x6c, v1
	v_sub_u32_e32 v10, v0, v1
	v_add_u32_e32 v14, 0x6c, v10
                                        ; implicit-def: $vgpr0
                                        ; implicit-def: $vgpr1_vgpr2
; %bb.11:
	s_andn2_saveexec_b64 s[4:5], s[4:5]
	s_cbranch_execz .LBB0_13
; %bb.12:
	s_add_u32 s6, s16, s6
	s_addc_u32 s7, s17, s7
	s_load_dwordx2 s[6:7], s[6:7], 0x0
	s_mov_b32 s14, 0x25ed098
	v_mul_hi_u32 v5, v0, s14
	s_waitcnt lgkmcnt(0)
	v_mul_lo_u32 v6, s7, v12
	v_mul_lo_u32 v7, s6, v13
	v_mad_u64_u32 v[3:4], s[6:7], s6, v12, 0
	v_mul_u32_u24_e32 v5, 0x6c, v5
	v_sub_u32_e32 v10, v0, v5
	v_add3_u32 v4, v4, v7, v6
	v_lshlrev_b64 v[3:4], 4, v[3:4]
	v_mov_b32_e32 v0, s9
	v_add_co_u32_e32 v3, vcc, s8, v3
	v_addc_co_u32_e32 v4, vcc, v0, v4, vcc
	v_lshlrev_b64 v[0:1], 4, v[1:2]
	v_lshlrev_b32_e32 v11, 4, v10
	v_add_co_u32_e32 v0, vcc, v3, v0
	v_addc_co_u32_e32 v1, vcc, v4, v1, vcc
	v_add_co_u32_e32 v39, vcc, v0, v11
	v_addc_co_u32_e32 v40, vcc, 0, v1, vcc
	s_movk_i32 s6, 0x1000
	v_add_co_u32_e32 v31, vcc, s6, v39
	v_addc_co_u32_e32 v32, vcc, 0, v40, vcc
	s_movk_i32 s6, 0x2000
	v_add_co_u32_e32 v41, vcc, s6, v39
	v_addc_co_u32_e32 v42, vcc, 0, v40, vcc
	v_add_co_u32_e32 v55, vcc, 0x3000, v39
	v_addc_co_u32_e32 v56, vcc, 0, v40, vcc
	v_add_co_u32_e32 v57, vcc, 0x4000, v39
	global_load_dwordx4 v[0:3], v[39:40], off
	global_load_dwordx4 v[4:7], v[39:40], off offset:1728
	global_load_dwordx4 v[15:18], v[39:40], off offset:3456
	;; [unrolled: 1-line block ×5, first 2 shown]
	s_nop 0
	global_load_dwordx4 v[31:34], v[41:42], off offset:2176
	global_load_dwordx4 v[35:38], v[41:42], off offset:3904
	v_addc_co_u32_e32 v58, vcc, 0, v40, vcc
	global_load_dwordx4 v[39:42], v[55:56], off offset:1536
	global_load_dwordx4 v[43:46], v[55:56], off offset:3264
	;; [unrolled: 1-line block ×4, first 2 shown]
	v_add_u32_e32 v14, 0x6c, v10
	v_add_u32_e32 v11, 0, v11
	s_waitcnt vmcnt(11)
	ds_write_b128 v11, v[0:3]
	s_waitcnt vmcnt(10)
	ds_write_b128 v11, v[4:7] offset:1728
	s_waitcnt vmcnt(9)
	ds_write_b128 v11, v[15:18] offset:3456
	;; [unrolled: 2-line block ×11, first 2 shown]
.LBB0_13:
	s_or_b64 exec, exec, s[4:5]
	v_lshlrev_b32_e32 v0, 4, v10
	v_add_u32_e32 v22, 0, v0
	s_load_dwordx2 s[2:3], s[2:3], 0x0
	s_waitcnt lgkmcnt(0)
	s_barrier
	ds_read_b128 v[1:4], v22 offset:6912
	ds_read_b128 v[15:18], v22
	ds_read_b128 v[23:26], v22 offset:17280
	ds_read_b128 v[27:30], v22 offset:1728
	;; [unrolled: 1-line block ×9, first 2 shown]
	s_mov_b32 s4, 0xe8584caa
	s_mov_b32 s5, 0x3febb67a
	s_waitcnt lgkmcnt(5)
	v_add_f64 v[63:64], v[37:38], v[25:26]
	v_add_f64 v[65:66], v[35:36], v[23:24]
	v_add_f64 v[71:72], v[35:36], -v[23:24]
	v_add_f64 v[69:70], v[37:38], -v[25:26]
	s_mov_b32 s7, 0xbfebb67a
	s_mov_b32 s6, s4
	v_add_f64 v[5:6], v[15:16], v[1:2]
	v_add_f64 v[19:20], v[17:18], v[3:4]
	s_waitcnt lgkmcnt(0)
	v_fma_f64 v[63:64], v[63:64], -0.5, v[57:58]
	v_fma_f64 v[65:66], v[65:66], -0.5, v[55:56]
	v_add_f64 v[67:68], v[1:2], v[47:48]
	v_add_f64 v[73:74], v[3:4], -v[49:50]
	v_add_f64 v[3:4], v[3:4], v[49:50]
	v_add_f64 v[1:2], v[1:2], -v[47:48]
	v_add_f64 v[35:36], v[55:56], v[35:36]
	v_add_f64 v[37:38], v[57:58], v[37:38]
	v_fma_f64 v[75:76], v[71:72], s[6:7], v[63:64]
	v_fma_f64 v[77:78], v[69:70], s[4:5], v[65:66]
	v_add_f64 v[5:6], v[5:6], v[47:48]
	v_add_f64 v[19:20], v[19:20], v[49:50]
	v_fma_f64 v[47:48], v[69:70], s[6:7], v[65:66]
	v_fma_f64 v[57:58], v[71:72], s[4:5], v[63:64]
	v_fma_f64 v[15:16], v[67:68], -0.5, v[15:16]
	v_fma_f64 v[3:4], v[3:4], -0.5, v[17:18]
	v_mul_f64 v[49:50], v[75:76], s[4:5]
	v_mul_f64 v[55:56], v[77:78], s[6:7]
	v_add_f64 v[23:24], v[35:36], v[23:24]
	v_add_f64 v[17:18], v[37:38], v[25:26]
	v_mul_f64 v[25:26], v[47:48], -0.5
	s_movk_i32 s8, 0x50
	v_fma_f64 v[63:64], v[73:74], s[6:7], v[15:16]
	v_fma_f64 v[65:66], v[1:2], s[6:7], v[3:4]
	v_fma_f64 v[35:36], v[77:78], 0.5, v[49:50]
	v_mul_f64 v[49:50], v[57:58], -0.5
	v_fma_f64 v[37:38], v[75:76], 0.5, v[55:56]
	v_fma_f64 v[55:56], v[73:74], s[4:5], v[15:16]
	v_fma_f64 v[67:68], v[1:2], s[4:5], v[3:4]
	;; [unrolled: 1-line block ×3, first 2 shown]
	v_add_f64 v[1:2], v[5:6], v[23:24]
	v_add_f64 v[3:4], v[19:20], v[17:18]
	v_add_f64 v[15:16], v[5:6], -v[23:24]
	v_fma_f64 v[69:70], v[47:48], s[6:7], v[49:50]
	v_add_f64 v[25:26], v[65:66], v[37:38]
	v_add_f64 v[23:24], v[55:56], v[35:36]
	v_mad_u32_u24 v5, v10, s8, v22
	v_add_f64 v[47:48], v[63:64], v[57:58]
	ds_read_b128 v[59:62], v22 offset:5184
	v_add_f64 v[17:18], v[19:20], -v[17:18]
	s_waitcnt lgkmcnt(0)
	v_add_f64 v[49:50], v[67:68], v[69:70]
	s_barrier
	ds_write_b128 v5, v[1:4]
	ds_write_b128 v5, v[23:26] offset:16
	ds_write_b128 v5, v[47:50] offset:32
	v_add_f64 v[1:2], v[41:42], v[45:46]
	v_add_f64 v[3:4], v[39:40], v[43:44]
	v_add_f64 v[35:36], v[55:56], -v[35:36]
	v_add_f64 v[37:38], v[65:66], -v[37:38]
	;; [unrolled: 1-line block ×4, first 2 shown]
	ds_write_b128 v5, v[15:18] offset:48
	ds_write_b128 v5, v[35:38] offset:64
	;; [unrolled: 1-line block ×3, first 2 shown]
	v_add_f64 v[15:16], v[41:42], -v[45:46]
	v_add_f64 v[17:18], v[39:40], -v[43:44]
	v_fma_f64 v[1:2], v[1:2], -0.5, v[61:62]
	v_fma_f64 v[3:4], v[3:4], -0.5, v[59:60]
	v_add_f64 v[19:20], v[29:30], v[33:34]
	v_add_f64 v[23:24], v[31:32], v[51:52]
	v_add_f64 v[25:26], v[33:34], -v[53:54]
	v_add_f64 v[35:36], v[59:60], v[39:40]
	v_add_f64 v[33:34], v[33:34], v[53:54]
	;; [unrolled: 1-line block ×3, first 2 shown]
	v_fma_f64 v[37:38], v[17:18], s[6:7], v[1:2]
	v_fma_f64 v[39:40], v[15:16], s[4:5], v[3:4]
	;; [unrolled: 1-line block ×4, first 2 shown]
	v_add_f64 v[5:6], v[27:28], v[31:32]
	v_add_f64 v[31:32], v[31:32], -v[51:52]
	v_add_f64 v[35:36], v[35:36], v[43:44]
	v_fma_f64 v[23:24], v[23:24], -0.5, v[27:28]
	v_mul_f64 v[17:18], v[37:38], s[4:5]
	v_mul_f64 v[43:44], v[39:40], s[6:7]
	v_fma_f64 v[27:28], v[33:34], -0.5, v[29:30]
	v_add_f64 v[29:30], v[41:42], v[45:46]
	v_mul_f64 v[33:34], v[3:4], -0.5
	v_mul_f64 v[41:42], v[15:16], -0.5
	v_add_f64 v[5:6], v[5:6], v[51:52]
	v_add_f64 v[19:20], v[19:20], v[53:54]
	v_fma_f64 v[39:40], v[39:40], 0.5, v[17:18]
	v_fma_f64 v[37:38], v[37:38], 0.5, v[43:44]
	v_fma_f64 v[43:44], v[25:26], s[4:5], v[23:24]
	v_fma_f64 v[45:46], v[31:32], s[6:7], v[27:28]
	;; [unrolled: 1-line block ×6, first 2 shown]
	v_add_f64 v[1:2], v[5:6], v[35:36]
	v_add_f64 v[3:4], v[19:20], v[29:30]
	;; [unrolled: 1-line block ×4, first 2 shown]
	v_add_f64 v[15:16], v[5:6], -v[35:36]
	v_add_f64 v[17:18], v[19:20], -v[29:30]
	v_add_f64 v[32:33], v[47:48], v[51:52]
	v_add_f64 v[34:35], v[49:50], v[41:42]
	v_add_f64 v[28:29], v[43:44], -v[39:40]
	v_add_f64 v[30:31], v[45:46], -v[37:38]
	;; [unrolled: 1-line block ×4, first 2 shown]
	v_mul_i32_i24_e32 v5, 6, v14
	v_lshl_add_u32 v23, v5, 4, 0
	s_movk_i32 s8, 0xab
	ds_write_b128 v23, v[1:4]
	ds_write_b128 v23, v[24:27] offset:16
	ds_write_b128 v23, v[32:35] offset:32
	;; [unrolled: 1-line block ×5, first 2 shown]
	v_mul_lo_u16_sdwa v1, v10, s8 dst_sel:DWORD dst_unused:UNUSED_PAD src0_sel:BYTE_0 src1_sel:DWORD
	v_lshrrev_b16_e32 v11, 10, v1
	v_mul_lo_u16_e32 v1, 6, v11
	v_sub_u16_e32 v21, v10, v1
	v_mov_b32_e32 v1, 5
	v_mul_u32_u24_sdwa v2, v21, v1 dst_sel:DWORD dst_unused:UNUSED_PAD src0_sel:BYTE_0 src1_sel:DWORD
	v_lshlrev_b32_e32 v2, 4, v2
	s_waitcnt lgkmcnt(0)
	s_barrier
	global_load_dwordx4 v[15:18], v2, s[12:13]
	global_load_dwordx4 v[24:27], v2, s[12:13] offset:16
	global_load_dwordx4 v[28:31], v2, s[12:13] offset:32
	;; [unrolled: 1-line block ×4, first 2 shown]
	v_mul_lo_u16_sdwa v2, v14, s8 dst_sel:DWORD dst_unused:UNUSED_PAD src0_sel:BYTE_0 src1_sel:DWORD
	v_lshrrev_b16_e32 v4, 10, v2
	v_mul_lo_u16_e32 v2, 6, v4
	v_sub_u16_e32 v5, v14, v2
	v_mul_u32_u24_sdwa v2, v5, v1 dst_sel:DWORD dst_unused:UNUSED_PAD src0_sel:BYTE_0 src1_sel:DWORD
	v_lshlrev_b32_e32 v2, 4, v2
	global_load_dwordx4 v[40:43], v2, s[12:13]
	global_load_dwordx4 v[44:47], v2, s[12:13] offset:16
	global_load_dwordx4 v[48:51], v2, s[12:13] offset:32
	;; [unrolled: 1-line block ×4, first 2 shown]
	ds_read_b128 v[60:63], v22 offset:3456
	ds_read_b128 v[64:67], v22
	s_movk_i32 s8, 0xffb0
	v_mul_u32_u24_e32 v4, 0x240, v4
	s_waitcnt vmcnt(9) lgkmcnt(1)
	v_mul_f64 v[2:3], v[62:63], v[17:18]
	v_mul_f64 v[6:7], v[60:61], v[17:18]
	ds_read_b128 v[17:20], v22 offset:6912
	ds_read_b128 v[68:71], v22 offset:5184
	;; [unrolled: 1-line block ×3, first 2 shown]
	v_fma_f64 v[76:77], v[60:61], v[15:16], -v[2:3]
	s_waitcnt vmcnt(8) lgkmcnt(2)
	v_mul_f64 v[2:3], v[19:20], v[26:27]
	s_waitcnt vmcnt(7) lgkmcnt(0)
	v_mul_f64 v[78:79], v[74:75], v[30:31]
	v_mul_f64 v[30:31], v[72:73], v[30:31]
	;; [unrolled: 1-line block ×3, first 2 shown]
	v_fma_f64 v[6:7], v[62:63], v[15:16], v[6:7]
	ds_read_b128 v[60:63], v22 offset:8640
	v_fma_f64 v[80:81], v[17:18], v[24:25], -v[2:3]
	ds_read_b128 v[15:18], v22 offset:13824
	v_fma_f64 v[72:73], v[72:73], v[28:29], -v[78:79]
	v_fma_f64 v[74:75], v[74:75], v[28:29], v[30:31]
	ds_read_b128 v[28:31], v22 offset:17280
	v_fma_f64 v[19:20], v[19:20], v[24:25], v[26:27]
	s_waitcnt vmcnt(6) lgkmcnt(1)
	v_mul_f64 v[2:3], v[17:18], v[34:35]
	v_mul_f64 v[34:35], v[15:16], v[34:35]
	ds_read_b128 v[24:27], v22 offset:12096
	v_fma_f64 v[78:79], v[15:16], v[32:33], -v[2:3]
	s_waitcnt vmcnt(5) lgkmcnt(1)
	v_mul_f64 v[2:3], v[30:31], v[38:39]
	v_fma_f64 v[32:33], v[17:18], v[32:33], v[34:35]
	v_mul_f64 v[34:35], v[28:29], v[38:39]
	ds_read_b128 v[15:18], v22 offset:15552
	v_fma_f64 v[38:39], v[28:29], v[36:37], -v[2:3]
	s_waitcnt vmcnt(4)
	v_mul_f64 v[2:3], v[70:71], v[42:43]
	v_mul_f64 v[28:29], v[68:69], v[42:43]
	v_fma_f64 v[34:35], v[30:31], v[36:37], v[34:35]
	s_waitcnt vmcnt(2) lgkmcnt(1)
	v_mul_f64 v[30:31], v[26:27], v[50:51]
	v_mul_f64 v[36:37], v[24:25], v[50:51]
	v_fma_f64 v[68:69], v[68:69], v[40:41], -v[2:3]
	v_mul_f64 v[2:3], v[62:63], v[46:47]
	v_fma_f64 v[70:71], v[70:71], v[40:41], v[28:29]
	v_mul_f64 v[28:29], v[60:61], v[46:47]
	v_add_f64 v[46:47], v[76:77], v[72:73]
	v_fma_f64 v[50:51], v[60:61], v[44:45], -v[2:3]
	v_mad_i32_i24 v3, v14, s8, v23
	v_fma_f64 v[60:61], v[62:63], v[44:45], v[28:29]
	v_fma_f64 v[62:63], v[24:25], v[48:49], -v[30:31]
	ds_read_b128 v[28:31], v3
	v_fma_f64 v[48:49], v[26:27], v[48:49], v[36:37]
	s_waitcnt vmcnt(1) lgkmcnt(1)
	v_mul_f64 v[36:37], v[17:18], v[54:55]
	v_mul_f64 v[40:41], v[15:16], v[54:55]
	ds_read_b128 v[24:27], v22 offset:19008
	v_mov_b32_e32 v2, 4
	s_waitcnt vmcnt(0) lgkmcnt(0)
	s_barrier
	v_mul_f64 v[42:43], v[26:27], v[58:59]
	v_mul_f64 v[44:45], v[24:25], v[58:59]
	v_fma_f64 v[54:55], v[15:16], v[52:53], -v[36:37]
	v_add_f64 v[15:16], v[74:75], v[34:35]
	v_fma_f64 v[52:53], v[17:18], v[52:53], v[40:41]
	v_add_f64 v[17:18], v[72:73], v[38:39]
	v_add_f64 v[36:37], v[72:73], -v[38:39]
	v_add_f64 v[40:41], v[74:75], -v[34:35]
	v_fma_f64 v[58:59], v[24:25], v[56:57], -v[42:43]
	v_fma_f64 v[56:57], v[26:27], v[56:57], v[44:45]
	v_add_f64 v[24:25], v[80:81], v[78:79]
	v_add_f64 v[26:27], v[19:20], v[32:33]
	v_fma_f64 v[15:16], v[15:16], -0.5, v[6:7]
	v_fma_f64 v[17:18], v[17:18], -0.5, v[76:77]
	v_add_f64 v[6:7], v[6:7], v[74:75]
	v_add_f64 v[42:43], v[64:65], v[80:81]
	;; [unrolled: 1-line block ×4, first 2 shown]
	v_fma_f64 v[24:25], v[24:25], -0.5, v[64:65]
	v_fma_f64 v[26:27], v[26:27], -0.5, v[66:67]
	v_fma_f64 v[64:65], v[36:37], s[6:7], v[15:16]
	v_fma_f64 v[66:67], v[40:41], s[4:5], v[17:18]
	v_add_f64 v[6:7], v[6:7], v[34:35]
	v_fma_f64 v[34:35], v[40:41], s[6:7], v[17:18]
	v_fma_f64 v[36:37], v[36:37], s[4:5], v[15:16]
	v_add_f64 v[44:45], v[44:45], v[32:33]
	v_add_f64 v[19:20], v[19:20], -v[32:33]
	v_add_f64 v[32:33], v[80:81], -v[78:79]
	v_mul_f64 v[40:41], v[64:65], s[4:5]
	v_mul_f64 v[46:47], v[66:67], s[6:7]
	v_add_f64 v[42:43], v[42:43], v[78:79]
	v_mul_f64 v[72:73], v[34:35], -0.5
	v_mul_f64 v[74:75], v[36:37], -0.5
	v_add_f64 v[17:18], v[44:45], v[6:7]
	v_lshlrev_b32_sdwa v5, v2, v5 dst_sel:DWORD dst_unused:UNUSED_PAD src0_sel:DWORD src1_sel:BYTE_0
	v_fma_f64 v[76:77], v[32:33], s[4:5], v[26:27]
	v_fma_f64 v[40:41], v[66:67], 0.5, v[40:41]
	v_fma_f64 v[46:47], v[64:65], 0.5, v[46:47]
	v_fma_f64 v[64:65], v[19:20], s[4:5], v[24:25]
	v_fma_f64 v[66:67], v[32:33], s[6:7], v[26:27]
	v_add_f64 v[15:16], v[42:43], v[38:39]
	v_fma_f64 v[19:20], v[19:20], s[6:7], v[24:25]
	v_fma_f64 v[72:73], v[36:37], s[4:5], v[72:73]
	;; [unrolled: 1-line block ×3, first 2 shown]
	v_add_f64 v[26:27], v[44:45], -v[6:7]
	v_mul_u32_u24_e32 v6, 0x240, v11
	v_add_f64 v[32:33], v[64:65], v[40:41]
	v_add_f64 v[34:35], v[66:67], v[46:47]
	v_lshlrev_b32_sdwa v7, v2, v21 dst_sel:DWORD dst_unused:UNUSED_PAD src0_sel:DWORD src1_sel:BYTE_0
	v_add3_u32 v11, 0, v6, v7
	v_add_f64 v[24:25], v[42:43], -v[38:39]
	v_add_f64 v[36:37], v[64:65], -v[40:41]
	v_add_f64 v[40:41], v[19:20], v[72:73]
	v_add_f64 v[42:43], v[76:77], v[74:75]
	ds_write_b128 v11, v[15:18]
	ds_write_b128 v11, v[32:35] offset:96
	v_add_f64 v[6:7], v[48:49], v[56:57]
	v_add_f64 v[15:16], v[62:63], v[58:59]
	v_add_f64 v[38:39], v[66:67], -v[46:47]
	v_add_f64 v[44:45], v[19:20], -v[72:73]
	v_add_f64 v[46:47], v[76:77], -v[74:75]
	v_add_f64 v[19:20], v[60:61], v[52:53]
	ds_write_b128 v11, v[40:43] offset:192
	ds_write_b128 v11, v[24:27] offset:288
	;; [unrolled: 1-line block ×4, first 2 shown]
	v_fma_f64 v[6:7], v[6:7], -0.5, v[70:71]
	v_add_f64 v[24:25], v[62:63], -v[58:59]
	v_fma_f64 v[15:16], v[15:16], -0.5, v[68:69]
	v_add_f64 v[26:27], v[48:49], -v[56:57]
	v_add_f64 v[17:18], v[50:51], v[54:55]
	v_add_f64 v[34:35], v[30:31], v[60:61]
	v_fma_f64 v[19:20], v[19:20], -0.5, v[30:31]
	v_add_f64 v[32:33], v[28:29], v[50:51]
	v_add_f64 v[36:37], v[68:69], v[62:63]
	v_fma_f64 v[30:31], v[24:25], s[6:7], v[6:7]
	v_fma_f64 v[6:7], v[24:25], s[4:5], v[6:7]
	;; [unrolled: 1-line block ×4, first 2 shown]
	v_add_f64 v[38:39], v[70:71], v[48:49]
	v_fma_f64 v[28:29], v[17:18], -0.5, v[28:29]
	v_add_f64 v[44:45], v[60:61], -v[52:53]
	v_add_f64 v[46:47], v[50:51], -v[54:55]
	v_mul_f64 v[24:25], v[30:31], s[4:5]
	v_mul_f64 v[50:51], v[6:7], -0.5
	v_mul_f64 v[42:43], v[40:41], s[6:7]
	v_mul_f64 v[48:49], v[26:27], -0.5
	v_add_f64 v[32:33], v[32:33], v[54:55]
	v_add_f64 v[34:35], v[34:35], v[52:53]
	;; [unrolled: 1-line block ×4, first 2 shown]
	v_fma_f64 v[40:41], v[40:41], 0.5, v[24:25]
	v_fma_f64 v[52:53], v[44:45], s[4:5], v[28:29]
	v_fma_f64 v[42:43], v[30:31], 0.5, v[42:43]
	v_fma_f64 v[54:55], v[46:47], s[6:7], v[19:20]
	v_fma_f64 v[44:45], v[44:45], s[6:7], v[28:29]
	;; [unrolled: 1-line block ×5, first 2 shown]
	v_add_f64 v[15:16], v[32:33], v[36:37]
	v_add_f64 v[17:18], v[34:35], v[38:39]
	v_add_f64 v[28:29], v[52:53], v[40:41]
	v_add_f64 v[30:31], v[54:55], v[42:43]
	v_add_f64 v[24:25], v[32:33], -v[36:37]
	v_add_f64 v[26:27], v[34:35], -v[38:39]
	v_add_f64 v[36:37], v[44:45], v[6:7]
	v_add_f64 v[38:39], v[19:20], v[46:47]
	v_add_f64 v[32:33], v[52:53], -v[40:41]
	v_add_f64 v[34:35], v[54:55], -v[42:43]
	;; [unrolled: 1-line block ×4, first 2 shown]
	v_add3_u32 v4, 0, v4, v5
	ds_write_b128 v4, v[15:18]
	ds_write_b128 v4, v[28:31] offset:96
	ds_write_b128 v4, v[36:39] offset:192
	;; [unrolled: 1-line block ×5, first 2 shown]
	v_mov_b32_e32 v4, 57
	v_mul_lo_u16_sdwa v5, v10, v4 dst_sel:DWORD dst_unused:UNUSED_PAD src0_sel:BYTE_0 src1_sel:DWORD
	v_lshrrev_b16_e32 v7, 11, v5
	v_mul_lo_u16_e32 v5, 36, v7
	v_sub_u16_e32 v11, v10, v5
	v_mul_u32_u24_sdwa v5, v11, v1 dst_sel:DWORD dst_unused:UNUSED_PAD src0_sel:BYTE_0 src1_sel:DWORD
	v_lshlrev_b32_e32 v5, 4, v5
	s_waitcnt lgkmcnt(0)
	s_barrier
	global_load_dwordx4 v[15:18], v5, s[12:13] offset:480
	global_load_dwordx4 v[24:27], v5, s[12:13] offset:496
	;; [unrolled: 1-line block ×5, first 2 shown]
	ds_read_b128 v[40:43], v22 offset:3456
	ds_read_b128 v[44:47], v22
	v_mul_lo_u16_sdwa v4, v14, v4 dst_sel:DWORD dst_unused:UNUSED_PAD src0_sel:BYTE_0 src1_sel:DWORD
	v_lshrrev_b16_e32 v4, 11, v4
	v_mul_lo_u16_e32 v19, 36, v4
	v_sub_u16_e32 v21, v14, v19
	v_mul_u32_u24_sdwa v1, v21, v1 dst_sel:DWORD dst_unused:UNUSED_PAD src0_sel:BYTE_0 src1_sel:DWORD
	v_lshlrev_b32_e32 v1, 4, v1
	global_load_dwordx4 v[48:51], v1, s[12:13] offset:480
	ds_read_b128 v[52:55], v22 offset:6912
	s_waitcnt vmcnt(5) lgkmcnt(2)
	v_mul_f64 v[5:6], v[42:43], v[17:18]
	v_mul_f64 v[68:69], v[40:41], v[17:18]
	ds_read_b128 v[17:20], v22 offset:5184
	ds_read_b128 v[56:59], v22 offset:10368
	;; [unrolled: 1-line block ×4, first 2 shown]
	s_waitcnt vmcnt(4) lgkmcnt(4)
	v_mul_f64 v[70:71], v[54:55], v[26:27]
	v_mul_f64 v[26:27], v[52:53], v[26:27]
	s_waitcnt vmcnt(3) lgkmcnt(2)
	v_mul_f64 v[72:73], v[58:59], v[30:31]
	v_fma_f64 v[5:6], v[40:41], v[15:16], -v[5:6]
	v_fma_f64 v[68:69], v[42:43], v[15:16], v[68:69]
	s_waitcnt vmcnt(2) lgkmcnt(0)
	v_mul_f64 v[15:16], v[66:67], v[34:35]
	v_mul_f64 v[34:35], v[64:65], v[34:35]
	;; [unrolled: 1-line block ×3, first 2 shown]
	v_fma_f64 v[70:71], v[52:53], v[24:25], -v[70:71]
	v_fma_f64 v[74:75], v[54:55], v[24:25], v[26:27]
	global_load_dwordx4 v[24:27], v1, s[12:13] offset:496
	ds_read_b128 v[40:43], v22 offset:12096
	v_fma_f64 v[72:73], v[56:57], v[28:29], -v[72:73]
	v_fma_f64 v[64:65], v[64:65], v[32:33], -v[15:16]
	v_fma_f64 v[66:67], v[66:67], v[32:33], v[34:35]
	global_load_dwordx4 v[32:35], v1, s[12:13] offset:512
	v_fma_f64 v[76:77], v[58:59], v[28:29], v[30:31]
	ds_read_b128 v[28:31], v22 offset:17280
	global_load_dwordx4 v[56:59], v1, s[12:13] offset:528
	ds_read_b128 v[52:55], v22 offset:15552
	s_waitcnt vmcnt(4) lgkmcnt(1)
	v_mul_f64 v[15:16], v[30:31], v[38:39]
	v_mul_f64 v[38:39], v[28:29], v[38:39]
	v_fma_f64 v[78:79], v[28:29], v[36:37], -v[15:16]
	v_fma_f64 v[36:37], v[30:31], v[36:37], v[38:39]
	global_load_dwordx4 v[28:31], v1, s[12:13] offset:544
	s_waitcnt vmcnt(4)
	v_mul_f64 v[15:16], v[19:20], v[50:51]
	v_mul_f64 v[38:39], v[17:18], v[50:51]
	v_mul_u32_u24_e32 v1, 0xd80, v7
	v_fma_f64 v[50:51], v[17:18], v[48:49], -v[15:16]
	v_fma_f64 v[19:20], v[19:20], v[48:49], v[38:39]
	s_waitcnt vmcnt(3)
	v_mul_f64 v[15:16], v[62:63], v[26:27]
	v_mul_f64 v[17:18], v[60:61], v[26:27]
	s_waitcnt vmcnt(2)
	v_mul_f64 v[26:27], v[42:43], v[34:35]
	v_mul_f64 v[34:35], v[40:41], v[34:35]
	v_fma_f64 v[48:49], v[60:61], v[24:25], -v[15:16]
	v_fma_f64 v[60:61], v[62:63], v[24:25], v[17:18]
	ds_read_b128 v[15:18], v22 offset:19008
	v_fma_f64 v[62:63], v[40:41], v[32:33], -v[26:27]
	ds_read_b128 v[24:27], v3
	s_waitcnt vmcnt(1) lgkmcnt(2)
	v_mul_f64 v[38:39], v[54:55], v[58:59]
	v_mul_f64 v[40:41], v[52:53], v[58:59]
	v_fma_f64 v[58:59], v[42:43], v[32:33], v[34:35]
	v_add_f64 v[34:35], v[76:77], v[36:37]
	v_add_f64 v[42:43], v[68:69], v[76:77]
	s_waitcnt vmcnt(0) lgkmcnt(0)
	s_barrier
	v_mul_f64 v[32:33], v[17:18], v[30:31]
	v_mul_f64 v[30:31], v[15:16], v[30:31]
	v_fma_f64 v[52:53], v[52:53], v[56:57], -v[38:39]
	v_add_f64 v[38:39], v[72:73], v[78:79]
	v_fma_f64 v[54:55], v[54:55], v[56:57], v[40:41]
	v_add_f64 v[40:41], v[46:47], v[74:75]
	v_fma_f64 v[56:57], v[15:16], v[28:29], -v[32:33]
	v_fma_f64 v[80:81], v[17:18], v[28:29], v[30:31]
	v_fma_f64 v[28:29], v[34:35], -0.5, v[68:69]
	v_add_f64 v[30:31], v[72:73], -v[78:79]
	v_fma_f64 v[32:33], v[38:39], -0.5, v[5:6]
	v_add_f64 v[34:35], v[76:77], -v[36:37]
	v_add_f64 v[15:16], v[70:71], v[64:65]
	v_add_f64 v[17:18], v[74:75], v[66:67]
	;; [unrolled: 1-line block ×5, first 2 shown]
	v_fma_f64 v[68:69], v[30:31], s[6:7], v[28:29]
	v_fma_f64 v[28:29], v[30:31], s[4:5], v[28:29]
	;; [unrolled: 1-line block ×4, first 2 shown]
	v_fma_f64 v[44:45], v[15:16], -0.5, v[44:45]
	v_fma_f64 v[46:47], v[17:18], -0.5, v[46:47]
	v_add_f64 v[38:39], v[38:39], v[64:65]
	v_add_f64 v[42:43], v[74:75], -v[66:67]
	v_mul_f64 v[30:31], v[68:69], s[4:5]
	v_add_f64 v[64:65], v[70:71], -v[64:65]
	v_mul_f64 v[34:35], v[72:73], s[6:7]
	v_add_f64 v[40:41], v[40:41], v[66:67]
	v_add_f64 v[5:6], v[5:6], v[78:79]
	v_mul_f64 v[66:67], v[32:33], -0.5
	v_mul_f64 v[70:71], v[28:29], -0.5
	v_fma_f64 v[74:75], v[42:43], s[4:5], v[44:45]
	v_fma_f64 v[72:73], v[72:73], 0.5, v[30:31]
	v_fma_f64 v[76:77], v[64:65], s[6:7], v[46:47]
	v_fma_f64 v[68:69], v[68:69], 0.5, v[34:35]
	v_add_f64 v[17:18], v[40:41], v[36:37]
	v_add_f64 v[15:16], v[38:39], v[5:6]
	v_fma_f64 v[44:45], v[42:43], s[6:7], v[44:45]
	v_fma_f64 v[46:47], v[64:65], s[4:5], v[46:47]
	;; [unrolled: 1-line block ×4, first 2 shown]
	v_add_f64 v[32:33], v[74:75], v[72:73]
	v_add_f64 v[34:35], v[76:77], v[68:69]
	v_add_f64 v[28:29], v[38:39], -v[5:6]
	v_lshlrev_b32_sdwa v5, v2, v11 dst_sel:DWORD dst_unused:UNUSED_PAD src0_sel:DWORD src1_sel:BYTE_0
	v_add3_u32 v1, 0, v1, v5
	v_add_f64 v[30:31], v[40:41], -v[36:37]
	v_add_f64 v[40:41], v[44:45], v[64:65]
	v_add_f64 v[42:43], v[46:47], v[66:67]
	ds_write_b128 v1, v[15:18]
	ds_write_b128 v1, v[32:35] offset:576
	v_add_f64 v[5:6], v[58:59], v[80:81]
	v_add_f64 v[15:16], v[62:63], v[56:57]
	v_add_f64 v[36:37], v[74:75], -v[72:73]
	v_add_f64 v[38:39], v[76:77], -v[68:69]
	;; [unrolled: 1-line block ×4, first 2 shown]
	ds_write_b128 v1, v[40:43] offset:1152
	ds_write_b128 v1, v[28:31] offset:1728
	;; [unrolled: 1-line block ×4, first 2 shown]
	v_add_f64 v[28:29], v[60:61], v[54:55]
	v_fma_f64 v[5:6], v[5:6], -0.5, v[19:20]
	v_add_f64 v[30:31], v[62:63], -v[56:57]
	v_fma_f64 v[15:16], v[15:16], -0.5, v[50:51]
	v_add_f64 v[32:33], v[58:59], -v[80:81]
	v_add_f64 v[17:18], v[48:49], v[52:53]
	v_add_f64 v[36:37], v[26:27], v[60:61]
	;; [unrolled: 1-line block ×3, first 2 shown]
	v_fma_f64 v[26:27], v[28:29], -0.5, v[26:27]
	v_add_f64 v[38:39], v[50:51], v[62:63]
	v_fma_f64 v[28:29], v[30:31], s[6:7], v[5:6]
	v_fma_f64 v[5:6], v[30:31], s[4:5], v[5:6]
	;; [unrolled: 1-line block ×4, first 2 shown]
	v_add_f64 v[19:20], v[19:20], v[58:59]
	v_fma_f64 v[24:25], v[17:18], -0.5, v[24:25]
	v_add_f64 v[44:45], v[60:61], -v[54:55]
	v_add_f64 v[46:47], v[48:49], -v[52:53]
	v_mul_f64 v[30:31], v[28:29], s[4:5]
	v_mul_f64 v[50:51], v[5:6], -0.5
	v_mul_f64 v[42:43], v[40:41], s[6:7]
	v_mul_f64 v[48:49], v[32:33], -0.5
	v_add_f64 v[34:35], v[34:35], v[52:53]
	v_add_f64 v[36:37], v[36:37], v[54:55]
	;; [unrolled: 1-line block ×4, first 2 shown]
	v_fma_f64 v[40:41], v[40:41], 0.5, v[30:31]
	v_fma_f64 v[52:53], v[44:45], s[4:5], v[24:25]
	v_fma_f64 v[42:43], v[28:29], 0.5, v[42:43]
	v_fma_f64 v[54:55], v[46:47], s[6:7], v[26:27]
	v_fma_f64 v[44:45], v[44:45], s[6:7], v[24:25]
	;; [unrolled: 1-line block ×5, first 2 shown]
	v_add_f64 v[15:16], v[34:35], v[38:39]
	v_add_f64 v[17:18], v[36:37], v[19:20]
	;; [unrolled: 1-line block ×4, first 2 shown]
	v_add_f64 v[24:25], v[34:35], -v[38:39]
	v_add_f64 v[26:27], v[36:37], -v[19:20]
	v_add_f64 v[36:37], v[44:45], v[5:6]
	v_add_f64 v[38:39], v[46:47], v[48:49]
	v_add_f64 v[32:33], v[52:53], -v[40:41]
	v_add_f64 v[34:35], v[54:55], -v[42:43]
	;; [unrolled: 1-line block ×4, first 2 shown]
	v_lshlrev_b32_sdwa v1, v2, v21 dst_sel:DWORD dst_unused:UNUSED_PAD src0_sel:DWORD src1_sel:BYTE_0
	v_mul_u32_u24_e32 v2, 0xd80, v4
	v_add3_u32 v1, 0, v2, v1
	ds_write_b128 v1, v[15:18]
	ds_write_b128 v1, v[28:31] offset:576
	ds_write_b128 v1, v[36:39] offset:1152
	;; [unrolled: 1-line block ×5, first 2 shown]
	v_mul_u32_u24_e32 v1, 5, v10
	v_lshlrev_b32_e32 v1, 4, v1
	s_waitcnt lgkmcnt(0)
	s_barrier
	global_load_dwordx4 v[4:7], v1, s[12:13] offset:3360
	global_load_dwordx4 v[15:18], v1, s[12:13] offset:3376
	;; [unrolled: 1-line block ×5, first 2 shown]
	v_mul_i32_i24_e32 v1, 5, v14
	v_mov_b32_e32 v2, 0
	v_lshlrev_b64 v[19:20], 4, v[1:2]
	v_mov_b32_e32 v11, s13
	v_add_co_u32_e32 v19, vcc, s12, v19
	v_addc_co_u32_e32 v20, vcc, v11, v20, vcc
	global_load_dwordx4 v[36:39], v[19:20], off offset:3360
	global_load_dwordx4 v[40:43], v[19:20], off offset:3376
	;; [unrolled: 1-line block ×5, first 2 shown]
	ds_read_b128 v[56:59], v22 offset:3456
	ds_read_b128 v[60:63], v22
	ds_read_b128 v[64:67], v22 offset:6912
	ds_read_b128 v[68:71], v22 offset:5184
	;; [unrolled: 1-line block ×3, first 2 shown]
	v_cmp_ne_u32_e32 vcc, 0, v10
	s_waitcnt vmcnt(9) lgkmcnt(4)
	v_mul_f64 v[19:20], v[58:59], v[6:7]
	v_mul_f64 v[6:7], v[56:57], v[6:7]
	v_fma_f64 v[19:20], v[56:57], v[4:5], -v[19:20]
	s_waitcnt vmcnt(8) lgkmcnt(2)
	v_mul_f64 v[56:57], v[66:67], v[17:18]
	v_mul_f64 v[17:18], v[64:65], v[17:18]
	v_fma_f64 v[76:77], v[58:59], v[4:5], v[6:7]
	s_waitcnt vmcnt(7) lgkmcnt(0)
	v_mul_f64 v[58:59], v[74:75], v[26:27]
	v_mul_f64 v[26:27], v[72:73], v[26:27]
	s_waitcnt vmcnt(4)
	v_mul_f64 v[80:81], v[70:71], v[38:39]
	ds_read_b128 v[4:7], v22 offset:8640
	v_fma_f64 v[64:65], v[64:65], v[15:16], -v[56:57]
	v_fma_f64 v[66:67], v[66:67], v[15:16], v[17:18]
	ds_read_b128 v[15:18], v22 offset:13824
	v_fma_f64 v[72:73], v[72:73], v[24:25], -v[58:59]
	v_fma_f64 v[74:75], v[74:75], v[24:25], v[26:27]
	ds_read_b128 v[24:27], v22 offset:12096
	ds_read_b128 v[56:59], v22 offset:17280
	s_waitcnt lgkmcnt(2)
	v_mul_f64 v[78:79], v[17:18], v[30:31]
	v_mul_f64 v[30:31], v[15:16], v[30:31]
	v_fma_f64 v[78:79], v[15:16], v[28:29], -v[78:79]
	v_fma_f64 v[28:29], v[17:18], v[28:29], v[30:31]
	ds_read_b128 v[15:18], v22 offset:15552
	s_waitcnt lgkmcnt(1)
	v_mul_f64 v[30:31], v[58:59], v[34:35]
	v_mul_f64 v[34:35], v[56:57], v[34:35]
	v_fma_f64 v[30:31], v[56:57], v[32:33], -v[30:31]
	v_fma_f64 v[32:33], v[58:59], v[32:33], v[34:35]
	v_mul_f64 v[34:35], v[68:69], v[38:39]
	v_fma_f64 v[56:57], v[68:69], v[36:37], -v[80:81]
	s_waitcnt vmcnt(2)
	v_mul_f64 v[58:59], v[26:27], v[46:47]
	v_fma_f64 v[68:69], v[70:71], v[36:37], v[34:35]
	v_mul_f64 v[34:35], v[24:25], v[46:47]
	v_fma_f64 v[58:59], v[24:25], v[44:45], -v[58:59]
	s_waitcnt vmcnt(1) lgkmcnt(0)
	v_mul_f64 v[36:37], v[15:16], v[50:51]
	v_fma_f64 v[44:45], v[26:27], v[44:45], v[34:35]
	ds_read_b128 v[24:27], v3
	v_mul_f64 v[38:39], v[6:7], v[42:43]
	v_mul_f64 v[42:43], v[4:5], v[42:43]
	;; [unrolled: 1-line block ×3, first 2 shown]
	v_add_f64 v[50:51], v[72:73], v[30:31]
	v_fma_f64 v[46:47], v[4:5], v[40:41], -v[38:39]
	v_fma_f64 v[70:71], v[6:7], v[40:41], v[42:43]
	ds_read_b128 v[4:7], v22 offset:19008
	v_add_f64 v[42:43], v[74:75], v[32:33]
	s_waitcnt vmcnt(0) lgkmcnt(0)
	s_barrier
	v_mul_f64 v[38:39], v[6:7], v[54:55]
	v_mul_f64 v[40:41], v[4:5], v[54:55]
	v_fma_f64 v[54:55], v[15:16], v[48:49], -v[34:35]
	v_fma_f64 v[48:49], v[17:18], v[48:49], v[36:37]
	v_fma_f64 v[17:18], v[50:51], -0.5, v[19:20]
	v_add_f64 v[34:35], v[74:75], -v[32:33]
	v_add_f64 v[15:16], v[72:73], -v[30:31]
	v_add_f64 v[36:37], v[66:67], v[28:29]
	v_fma_f64 v[80:81], v[4:5], v[52:53], -v[38:39]
	v_fma_f64 v[52:53], v[6:7], v[52:53], v[40:41]
	v_fma_f64 v[6:7], v[42:43], -0.5, v[76:77]
	v_add_f64 v[19:20], v[19:20], v[72:73]
	v_add_f64 v[42:43], v[76:77], v[74:75]
	v_fma_f64 v[72:73], v[34:35], s[4:5], v[17:18]
	v_add_f64 v[4:5], v[64:65], v[78:79]
	v_add_f64 v[38:39], v[60:61], v[64:65]
	;; [unrolled: 1-line block ×3, first 2 shown]
	v_fma_f64 v[36:37], v[36:37], -0.5, v[62:63]
	v_fma_f64 v[50:51], v[15:16], s[6:7], v[6:7]
	v_add_f64 v[19:20], v[19:20], v[30:31]
	v_add_f64 v[30:31], v[42:43], v[32:33]
	v_fma_f64 v[34:35], v[34:35], s[6:7], v[17:18]
	v_mul_f64 v[17:18], v[72:73], s[6:7]
	v_fma_f64 v[42:43], v[15:16], s[4:5], v[6:7]
	v_add_f64 v[62:63], v[64:65], -v[78:79]
	v_fma_f64 v[60:61], v[4:5], -0.5, v[60:61]
	v_add_f64 v[38:39], v[38:39], v[78:79]
	v_add_f64 v[40:41], v[40:41], v[28:29]
	v_mul_f64 v[32:33], v[50:51], s[4:5]
	v_add_f64 v[28:29], v[66:67], -v[28:29]
	v_mul_f64 v[64:65], v[34:35], -0.5
	v_fma_f64 v[50:51], v[50:51], 0.5, v[17:18]
	v_mul_f64 v[66:67], v[42:43], -0.5
	v_fma_f64 v[74:75], v[62:63], s[6:7], v[36:37]
	v_add_f64 v[4:5], v[38:39], v[19:20]
	v_add_f64 v[6:7], v[40:41], v[30:31]
	v_fma_f64 v[32:33], v[72:73], 0.5, v[32:33]
	v_fma_f64 v[72:73], v[28:29], s[4:5], v[60:61]
	v_add_f64 v[15:16], v[38:39], -v[19:20]
	v_add_f64 v[17:18], v[40:41], -v[30:31]
	v_fma_f64 v[19:20], v[28:29], s[6:7], v[60:61]
	v_fma_f64 v[40:41], v[42:43], s[4:5], v[64:65]
	;; [unrolled: 1-line block ×4, first 2 shown]
	v_add_f64 v[30:31], v[74:75], v[50:51]
	v_add_f64 v[34:35], v[74:75], -v[50:51]
	v_add_f64 v[50:51], v[44:45], v[52:53]
	v_add_f64 v[62:63], v[58:59], v[80:81]
	v_add_f64 v[64:65], v[58:59], -v[80:81]
	v_add_f64 v[66:67], v[44:45], -v[52:53]
	v_add_f64 v[44:45], v[68:69], v[44:45]
	v_add_f64 v[38:39], v[42:43], v[60:61]
	v_add_f64 v[42:43], v[42:43], -v[60:61]
	v_add_f64 v[60:61], v[70:71], v[48:49]
	v_fma_f64 v[50:51], v[50:51], -0.5, v[68:69]
	v_fma_f64 v[62:63], v[62:63], -0.5, v[56:57]
	v_add_f64 v[36:37], v[19:20], v[40:41]
	v_add_f64 v[40:41], v[19:20], -v[40:41]
	v_add_f64 v[19:20], v[46:47], v[54:55]
	v_add_f64 v[74:75], v[26:27], v[70:71]
	;; [unrolled: 1-line block ×3, first 2 shown]
	v_fma_f64 v[58:59], v[60:61], -0.5, v[26:27]
	v_fma_f64 v[60:61], v[64:65], s[6:7], v[50:51]
	v_fma_f64 v[68:69], v[66:67], s[4:5], v[62:63]
	v_add_f64 v[28:29], v[72:73], v[32:33]
	v_add_f64 v[32:33], v[72:73], -v[32:33]
	v_add_f64 v[72:73], v[24:25], v[46:47]
	v_add_f64 v[52:53], v[44:45], v[52:53]
	v_fma_f64 v[44:45], v[66:67], s[6:7], v[62:63]
	v_fma_f64 v[50:51], v[64:65], s[4:5], v[50:51]
	v_fma_f64 v[19:20], v[19:20], -0.5, v[24:25]
	v_add_f64 v[74:75], v[74:75], v[48:49]
	v_mul_f64 v[62:63], v[60:61], s[4:5]
	v_mul_f64 v[64:65], v[68:69], s[6:7]
	v_add_f64 v[48:49], v[70:71], -v[48:49]
	v_add_f64 v[46:47], v[46:47], -v[54:55]
	v_add_f64 v[72:73], v[72:73], v[54:55]
	v_mul_f64 v[54:55], v[44:45], -0.5
	v_mul_f64 v[66:67], v[50:51], -0.5
	v_add_f64 v[56:57], v[56:57], v[80:81]
	v_fma_f64 v[62:63], v[68:69], 0.5, v[62:63]
	v_fma_f64 v[60:61], v[60:61], 0.5, v[64:65]
	v_fma_f64 v[64:65], v[48:49], s[4:5], v[19:20]
	v_fma_f64 v[68:69], v[46:47], s[6:7], v[58:59]
	;; [unrolled: 1-line block ×6, first 2 shown]
	v_add_f64 v[24:25], v[72:73], v[56:57]
	v_add_f64 v[26:27], v[74:75], v[52:53]
	;; [unrolled: 1-line block ×4, first 2 shown]
	v_add_f64 v[44:45], v[72:73], -v[56:57]
	v_add_f64 v[46:47], v[74:75], -v[52:53]
	;; [unrolled: 1-line block ×4, first 2 shown]
	v_add_f64 v[56:57], v[19:20], v[76:77]
	v_add_f64 v[58:59], v[70:71], v[66:67]
	v_add_f64 v[60:61], v[19:20], -v[76:77]
	v_add_f64 v[62:63], v[70:71], -v[66:67]
	ds_write_b128 v22, v[4:7]
	ds_write_b128 v22, v[28:31] offset:3456
	ds_write_b128 v22, v[36:39] offset:6912
	ds_write_b128 v22, v[15:18] offset:10368
	ds_write_b128 v22, v[32:35] offset:13824
	ds_write_b128 v22, v[40:43] offset:17280
	ds_write_b128 v3, v[24:27]
	ds_write_b128 v3, v[48:51] offset:3456
	ds_write_b128 v3, v[56:59] offset:6912
	;; [unrolled: 1-line block ×5, first 2 shown]
	s_waitcnt lgkmcnt(0)
	s_barrier
	ds_read_b128 v[4:7], v22
	s_add_u32 s6, s12, 0x50a0
	s_addc_u32 s7, s13, 0
	v_sub_u32_e32 v24, 0, v0
                                        ; implicit-def: $vgpr0_vgpr1
                                        ; implicit-def: $vgpr16_vgpr17
                                        ; implicit-def: $vgpr18_vgpr19
                                        ; implicit-def: $vgpr20_vgpr21
	s_and_saveexec_b64 s[4:5], vcc
	s_xor_b64 s[4:5], exec, s[4:5]
	s_cbranch_execz .LBB0_15
; %bb.14:
	v_mov_b32_e32 v11, v2
	v_lshlrev_b64 v[0:1], 4, v[10:11]
	v_mov_b32_e32 v2, s7
	v_add_co_u32_e32 v0, vcc, s6, v0
	v_addc_co_u32_e32 v1, vcc, v2, v1, vcc
	global_load_dwordx4 v[25:28], v[0:1], off
	ds_read_b128 v[0:3], v24 offset:20736
	s_waitcnt lgkmcnt(0)
	v_add_f64 v[15:16], v[4:5], -v[0:1]
	v_add_f64 v[17:18], v[6:7], v[2:3]
	v_add_f64 v[2:3], v[6:7], -v[2:3]
	v_add_f64 v[0:1], v[4:5], v[0:1]
	v_mul_f64 v[6:7], v[15:16], 0.5
	v_mul_f64 v[4:5], v[17:18], 0.5
	;; [unrolled: 1-line block ×3, first 2 shown]
	s_waitcnt vmcnt(0)
	v_mul_f64 v[15:16], v[6:7], v[27:28]
	v_fma_f64 v[17:18], v[4:5], v[27:28], v[2:3]
	v_fma_f64 v[2:3], v[4:5], v[27:28], -v[2:3]
	v_fma_f64 v[20:21], v[0:1], 0.5, v[15:16]
	v_fma_f64 v[0:1], v[0:1], 0.5, -v[15:16]
	v_fma_f64 v[18:19], -v[25:26], v[6:7], v[17:18]
	v_fma_f64 v[2:3], -v[25:26], v[6:7], v[2:3]
	v_fma_f64 v[16:17], v[4:5], v[25:26], v[20:21]
	v_mov_b32_e32 v21, v11
	v_fma_f64 v[0:1], -v[4:5], v[25:26], v[0:1]
	v_mov_b32_e32 v20, v10
                                        ; implicit-def: $vgpr4_vgpr5
.LBB0_15:
	s_or_saveexec_b64 s[4:5], s[4:5]
	v_mul_i32_i24_e32 v11, 0xffffffb0, v14
	s_xor_b64 exec, exec, s[4:5]
	s_cbranch_execz .LBB0_17
; %bb.16:
	s_waitcnt lgkmcnt(0)
	v_add_f64 v[16:17], v[4:5], v[6:7]
	v_add_f64 v[0:1], v[4:5], -v[6:7]
	v_mov_b32_e32 v4, 0
	ds_read_b64 v[2:3], v4 offset:10376
	v_mov_b32_e32 v18, 0
	v_mov_b32_e32 v20, 0
	;; [unrolled: 1-line block ×4, first 2 shown]
	s_waitcnt lgkmcnt(0)
	v_xor_b32_e32 v3, 0x80000000, v3
	ds_write_b64 v4, v[2:3] offset:10376
	v_mov_b32_e32 v2, v18
	v_mov_b32_e32 v3, v19
.LBB0_17:
	s_or_b64 exec, exec, s[4:5]
	v_mov_b32_e32 v15, 0
	s_waitcnt lgkmcnt(0)
	v_lshlrev_b64 v[4:5], 4, v[14:15]
	v_mov_b32_e32 v6, s7
	v_add_co_u32_e32 v4, vcc, s6, v4
	v_addc_co_u32_e32 v5, vcc, v6, v5, vcc
	global_load_dwordx4 v[4:7], v[4:5], off
	v_lshlrev_b64 v[20:21], 4, v[20:21]
	v_mov_b32_e32 v14, s7
	v_add_co_u32_e32 v20, vcc, s6, v20
	v_addc_co_u32_e32 v21, vcc, v14, v21, vcc
	global_load_dwordx4 v[25:28], v[20:21], off offset:3456
	ds_write2_b64 v22, v[16:17], v[18:19] offset1:1
	ds_write_b128 v24, v[0:3] offset:20736
	v_add_u32_e32 v11, v23, v11
	ds_read_b128 v[0:3], v11
	ds_read_b128 v[16:19], v24 offset:19008
	s_movk_i32 s4, 0x1000
	v_add_co_u32_e32 v35, vcc, s4, v20
	v_addc_co_u32_e32 v36, vcc, 0, v21, vcc
	s_waitcnt lgkmcnt(0)
	v_add_f64 v[29:30], v[0:1], -v[16:17]
	v_add_f64 v[31:32], v[2:3], v[18:19]
	v_add_f64 v[2:3], v[2:3], -v[18:19]
	v_add_f64 v[0:1], v[0:1], v[16:17]
	s_movk_i32 s4, 0x2000
	v_mul_f64 v[18:19], v[29:30], 0.5
	v_mul_f64 v[29:30], v[31:32], 0.5
	;; [unrolled: 1-line block ×3, first 2 shown]
	s_waitcnt vmcnt(1)
	v_mul_f64 v[16:17], v[18:19], v[6:7]
	v_fma_f64 v[31:32], v[29:30], v[6:7], v[2:3]
	v_fma_f64 v[6:7], v[29:30], v[6:7], -v[2:3]
	v_fma_f64 v[33:34], v[0:1], 0.5, v[16:17]
	v_fma_f64 v[16:17], v[0:1], 0.5, -v[16:17]
	global_load_dwordx4 v[0:3], v[35:36], off offset:1088
	v_fma_f64 v[31:32], -v[4:5], v[18:19], v[31:32]
	v_fma_f64 v[6:7], -v[4:5], v[18:19], v[6:7]
	v_fma_f64 v[18:19], v[29:30], v[4:5], v[33:34]
	v_fma_f64 v[4:5], -v[29:30], v[4:5], v[16:17]
	ds_write_b64 v11, v[31:32] offset:8
	ds_write_b64 v24, v[6:7] offset:19016
	ds_write_b64 v11, v[18:19]
	ds_write_b64 v24, v[4:5] offset:19008
	ds_read_b128 v[4:7], v22 offset:3456
	ds_read_b128 v[16:19], v24 offset:17280
	v_add_u32_e32 v11, 0x800, v22
	s_waitcnt lgkmcnt(0)
	v_add_f64 v[29:30], v[4:5], -v[16:17]
	v_add_f64 v[31:32], v[6:7], v[18:19]
	v_add_f64 v[6:7], v[6:7], -v[18:19]
	v_add_f64 v[4:5], v[4:5], v[16:17]
	v_mul_f64 v[18:19], v[29:30], 0.5
	v_mul_f64 v[29:30], v[31:32], 0.5
	;; [unrolled: 1-line block ×3, first 2 shown]
	s_waitcnt vmcnt(1)
	v_mul_f64 v[16:17], v[18:19], v[27:28]
	v_fma_f64 v[31:32], v[29:30], v[27:28], v[6:7]
	v_fma_f64 v[27:28], v[29:30], v[27:28], -v[6:7]
	v_fma_f64 v[33:34], v[4:5], 0.5, v[16:17]
	v_fma_f64 v[16:17], v[4:5], 0.5, -v[16:17]
	global_load_dwordx4 v[4:7], v[35:36], off offset:2816
	v_fma_f64 v[31:32], -v[25:26], v[18:19], v[31:32]
	v_fma_f64 v[18:19], -v[25:26], v[18:19], v[27:28]
	v_fma_f64 v[27:28], v[29:30], v[25:26], v[33:34]
	v_fma_f64 v[16:17], -v[29:30], v[25:26], v[16:17]
	ds_write2_b64 v11, v[27:28], v[31:32] offset0:176 offset1:177
	ds_write_b128 v24, v[16:19] offset:17280
	ds_read_b128 v[16:19], v22 offset:5184
	ds_read_b128 v[25:28], v24 offset:15552
	v_add_u32_e32 v11, 0x1000, v22
	s_waitcnt lgkmcnt(0)
	v_add_f64 v[29:30], v[16:17], -v[25:26]
	v_add_f64 v[31:32], v[18:19], v[27:28]
	v_add_f64 v[18:19], v[18:19], -v[27:28]
	v_add_f64 v[16:17], v[16:17], v[25:26]
	v_mul_f64 v[27:28], v[29:30], 0.5
	v_mul_f64 v[29:30], v[31:32], 0.5
	;; [unrolled: 1-line block ×3, first 2 shown]
	s_waitcnt vmcnt(1)
	v_mul_f64 v[25:26], v[27:28], v[2:3]
	v_fma_f64 v[31:32], v[29:30], v[2:3], v[18:19]
	v_fma_f64 v[2:3], v[29:30], v[2:3], -v[18:19]
	v_fma_f64 v[33:34], v[16:17], 0.5, v[25:26]
	v_fma_f64 v[25:26], v[16:17], 0.5, -v[25:26]
	v_add_co_u32_e32 v16, vcc, s4, v20
	v_addc_co_u32_e32 v17, vcc, 0, v21, vcc
	global_load_dwordx4 v[16:19], v[16:17], off offset:448
	v_fma_f64 v[20:21], -v[0:1], v[27:28], v[31:32]
	v_fma_f64 v[2:3], -v[0:1], v[27:28], v[2:3]
	v_fma_f64 v[27:28], v[29:30], v[0:1], v[33:34]
	v_fma_f64 v[0:1], -v[29:30], v[0:1], v[25:26]
	ds_write2_b64 v11, v[27:28], v[20:21] offset0:136 offset1:137
	ds_write_b128 v24, v[0:3] offset:15552
	ds_read_b128 v[0:3], v22 offset:6912
	ds_read_b128 v[25:28], v24 offset:13824
	v_add_u32_e32 v11, 0x2000, v22
	s_waitcnt lgkmcnt(0)
	v_add_f64 v[20:21], v[0:1], -v[25:26]
	v_add_f64 v[29:30], v[2:3], v[27:28]
	v_add_f64 v[2:3], v[2:3], -v[27:28]
	v_add_f64 v[0:1], v[0:1], v[25:26]
	v_mul_f64 v[20:21], v[20:21], 0.5
	v_mul_f64 v[27:28], v[29:30], 0.5
	;; [unrolled: 1-line block ×3, first 2 shown]
	s_waitcnt vmcnt(1)
	v_mul_f64 v[25:26], v[20:21], v[6:7]
	v_fma_f64 v[29:30], v[27:28], v[6:7], v[2:3]
	v_fma_f64 v[2:3], v[27:28], v[6:7], -v[2:3]
	v_fma_f64 v[6:7], v[0:1], 0.5, v[25:26]
	v_fma_f64 v[0:1], v[0:1], 0.5, -v[25:26]
	v_fma_f64 v[25:26], -v[4:5], v[20:21], v[29:30]
	v_fma_f64 v[2:3], -v[4:5], v[20:21], v[2:3]
	v_fma_f64 v[6:7], v[27:28], v[4:5], v[6:7]
	v_fma_f64 v[0:1], -v[27:28], v[4:5], v[0:1]
	v_add_u32_e32 v4, 0x1800, v22
	ds_write2_b64 v4, v[6:7], v[25:26] offset0:96 offset1:97
	ds_write_b128 v24, v[0:3] offset:13824
	ds_read_b128 v[0:3], v22 offset:8640
	ds_read_b128 v[4:7], v24 offset:12096
	s_waitcnt lgkmcnt(0)
	v_add_f64 v[20:21], v[0:1], -v[4:5]
	v_add_f64 v[25:26], v[2:3], v[6:7]
	v_add_f64 v[2:3], v[2:3], -v[6:7]
	v_add_f64 v[0:1], v[0:1], v[4:5]
	v_mul_f64 v[6:7], v[20:21], 0.5
	v_mul_f64 v[20:21], v[25:26], 0.5
	v_mul_f64 v[2:3], v[2:3], 0.5
	s_waitcnt vmcnt(0)
	v_mul_f64 v[4:5], v[6:7], v[18:19]
	v_fma_f64 v[25:26], v[20:21], v[18:19], v[2:3]
	v_fma_f64 v[2:3], v[20:21], v[18:19], -v[2:3]
	v_fma_f64 v[18:19], v[0:1], 0.5, v[4:5]
	v_fma_f64 v[0:1], v[0:1], 0.5, -v[4:5]
	v_fma_f64 v[4:5], -v[16:17], v[6:7], v[25:26]
	v_fma_f64 v[2:3], -v[16:17], v[6:7], v[2:3]
	v_fma_f64 v[6:7], v[20:21], v[16:17], v[18:19]
	v_fma_f64 v[0:1], -v[20:21], v[16:17], v[0:1]
	ds_write2_b64 v11, v[6:7], v[4:5] offset0:56 offset1:57
	ds_write_b128 v24, v[0:3] offset:12096
	s_waitcnt lgkmcnt(0)
	s_barrier
	s_and_saveexec_b64 s[4:5], s[0:1]
	s_cbranch_execz .LBB0_20
; %bb.18:
	v_mul_lo_u32 v2, s3, v12
	v_mul_lo_u32 v3, s2, v13
	v_mad_u64_u32 v[0:1], s[0:1], s2, v12, 0
	v_mov_b32_e32 v6, s11
	v_lshl_add_u32 v13, v10, 4, 0
	v_add3_u32 v1, v1, v3, v2
	v_lshlrev_b64 v[0:1], 4, v[0:1]
	v_mov_b32_e32 v11, v15
	v_add_co_u32_e32 v0, vcc, s10, v0
	v_addc_co_u32_e32 v12, vcc, v6, v1, vcc
	v_lshlrev_b64 v[6:7], 4, v[8:9]
	ds_read_b128 v[2:5], v13
	v_add_co_u32_e32 v1, vcc, v0, v6
	v_addc_co_u32_e32 v0, vcc, v12, v7, vcc
	v_lshlrev_b64 v[6:7], 4, v[10:11]
	v_add_u32_e32 v14, 0x6c, v10
	v_add_co_u32_e32 v11, vcc, v1, v6
	v_addc_co_u32_e32 v12, vcc, v0, v7, vcc
	ds_read_b128 v[6:9], v13 offset:1728
	s_waitcnt lgkmcnt(1)
	global_store_dwordx4 v[11:12], v[2:5], off
	s_movk_i32 s0, 0x6b
	v_lshlrev_b64 v[2:3], 4, v[14:15]
	v_add_u32_e32 v14, 0xd8, v10
	v_add_co_u32_e32 v2, vcc, v1, v2
	v_addc_co_u32_e32 v3, vcc, v0, v3, vcc
	s_waitcnt lgkmcnt(0)
	global_store_dwordx4 v[2:3], v[6:9], off
	ds_read_b128 v[2:5], v13 offset:3456
	v_lshlrev_b64 v[6:7], 4, v[14:15]
	v_add_u32_e32 v14, 0x144, v10
	v_add_co_u32_e32 v11, vcc, v1, v6
	v_addc_co_u32_e32 v12, vcc, v0, v7, vcc
	ds_read_b128 v[6:9], v13 offset:5184
	s_waitcnt lgkmcnt(1)
	global_store_dwordx4 v[11:12], v[2:5], off
	s_nop 0
	v_lshlrev_b64 v[2:3], 4, v[14:15]
	v_add_u32_e32 v14, 0x1b0, v10
	v_add_co_u32_e32 v2, vcc, v1, v2
	v_addc_co_u32_e32 v3, vcc, v0, v3, vcc
	s_waitcnt lgkmcnt(0)
	global_store_dwordx4 v[2:3], v[6:9], off
	ds_read_b128 v[2:5], v13 offset:6912
	v_lshlrev_b64 v[6:7], 4, v[14:15]
	v_add_u32_e32 v14, 0x21c, v10
	v_add_co_u32_e32 v11, vcc, v1, v6
	v_addc_co_u32_e32 v12, vcc, v0, v7, vcc
	ds_read_b128 v[6:9], v13 offset:8640
	s_waitcnt lgkmcnt(1)
	global_store_dwordx4 v[11:12], v[2:5], off
	s_nop 0
	;; [unrolled: 15-line block ×5, first 2 shown]
	v_lshlrev_b64 v[2:3], 4, v[14:15]
	v_add_co_u32_e32 v2, vcc, v1, v2
	v_addc_co_u32_e32 v3, vcc, v0, v3, vcc
	v_cmp_eq_u32_e32 vcc, s0, v10
	s_waitcnt lgkmcnt(0)
	global_store_dwordx4 v[2:3], v[6:9], off
	s_and_b64 exec, exec, vcc
	s_cbranch_execz .LBB0_20
; %bb.19:
	v_mov_b32_e32 v2, 0
	ds_read_b128 v[2:5], v2 offset:20736
	v_add_co_u32_e32 v6, vcc, 0x5000, v1
	v_addc_co_u32_e32 v7, vcc, 0, v0, vcc
	s_waitcnt lgkmcnt(0)
	global_store_dwordx4 v[6:7], v[2:5], off offset:256
.LBB0_20:
	s_endpgm
	.section	.rodata,"a",@progbits
	.p2align	6, 0x0
	.amdhsa_kernel fft_rtc_fwd_len1296_factors_6_6_6_6_wgs_108_tpt_108_halfLds_dp_op_CI_CI_unitstride_sbrr_R2C_dirReg
		.amdhsa_group_segment_fixed_size 0
		.amdhsa_private_segment_fixed_size 0
		.amdhsa_kernarg_size 104
		.amdhsa_user_sgpr_count 6
		.amdhsa_user_sgpr_private_segment_buffer 1
		.amdhsa_user_sgpr_dispatch_ptr 0
		.amdhsa_user_sgpr_queue_ptr 0
		.amdhsa_user_sgpr_kernarg_segment_ptr 1
		.amdhsa_user_sgpr_dispatch_id 0
		.amdhsa_user_sgpr_flat_scratch_init 0
		.amdhsa_user_sgpr_private_segment_size 0
		.amdhsa_uses_dynamic_stack 0
		.amdhsa_system_sgpr_private_segment_wavefront_offset 0
		.amdhsa_system_sgpr_workgroup_id_x 1
		.amdhsa_system_sgpr_workgroup_id_y 0
		.amdhsa_system_sgpr_workgroup_id_z 0
		.amdhsa_system_sgpr_workgroup_info 0
		.amdhsa_system_vgpr_workitem_id 0
		.amdhsa_next_free_vgpr 82
		.amdhsa_next_free_sgpr 28
		.amdhsa_reserve_vcc 1
		.amdhsa_reserve_flat_scratch 0
		.amdhsa_float_round_mode_32 0
		.amdhsa_float_round_mode_16_64 0
		.amdhsa_float_denorm_mode_32 3
		.amdhsa_float_denorm_mode_16_64 3
		.amdhsa_dx10_clamp 1
		.amdhsa_ieee_mode 1
		.amdhsa_fp16_overflow 0
		.amdhsa_exception_fp_ieee_invalid_op 0
		.amdhsa_exception_fp_denorm_src 0
		.amdhsa_exception_fp_ieee_div_zero 0
		.amdhsa_exception_fp_ieee_overflow 0
		.amdhsa_exception_fp_ieee_underflow 0
		.amdhsa_exception_fp_ieee_inexact 0
		.amdhsa_exception_int_div_zero 0
	.end_amdhsa_kernel
	.text
.Lfunc_end0:
	.size	fft_rtc_fwd_len1296_factors_6_6_6_6_wgs_108_tpt_108_halfLds_dp_op_CI_CI_unitstride_sbrr_R2C_dirReg, .Lfunc_end0-fft_rtc_fwd_len1296_factors_6_6_6_6_wgs_108_tpt_108_halfLds_dp_op_CI_CI_unitstride_sbrr_R2C_dirReg
                                        ; -- End function
	.section	.AMDGPU.csdata,"",@progbits
; Kernel info:
; codeLenInByte = 9220
; NumSgprs: 32
; NumVgprs: 82
; ScratchSize: 0
; MemoryBound: 0
; FloatMode: 240
; IeeeMode: 1
; LDSByteSize: 0 bytes/workgroup (compile time only)
; SGPRBlocks: 3
; VGPRBlocks: 20
; NumSGPRsForWavesPerEU: 32
; NumVGPRsForWavesPerEU: 82
; Occupancy: 3
; WaveLimiterHint : 1
; COMPUTE_PGM_RSRC2:SCRATCH_EN: 0
; COMPUTE_PGM_RSRC2:USER_SGPR: 6
; COMPUTE_PGM_RSRC2:TRAP_HANDLER: 0
; COMPUTE_PGM_RSRC2:TGID_X_EN: 1
; COMPUTE_PGM_RSRC2:TGID_Y_EN: 0
; COMPUTE_PGM_RSRC2:TGID_Z_EN: 0
; COMPUTE_PGM_RSRC2:TIDIG_COMP_CNT: 0
	.type	__hip_cuid_d3d0a773b4975860,@object ; @__hip_cuid_d3d0a773b4975860
	.section	.bss,"aw",@nobits
	.globl	__hip_cuid_d3d0a773b4975860
__hip_cuid_d3d0a773b4975860:
	.byte	0                               ; 0x0
	.size	__hip_cuid_d3d0a773b4975860, 1

	.ident	"AMD clang version 19.0.0git (https://github.com/RadeonOpenCompute/llvm-project roc-6.4.0 25133 c7fe45cf4b819c5991fe208aaa96edf142730f1d)"
	.section	".note.GNU-stack","",@progbits
	.addrsig
	.addrsig_sym __hip_cuid_d3d0a773b4975860
	.amdgpu_metadata
---
amdhsa.kernels:
  - .args:
      - .actual_access:  read_only
        .address_space:  global
        .offset:         0
        .size:           8
        .value_kind:     global_buffer
      - .offset:         8
        .size:           8
        .value_kind:     by_value
      - .actual_access:  read_only
        .address_space:  global
        .offset:         16
        .size:           8
        .value_kind:     global_buffer
      - .actual_access:  read_only
        .address_space:  global
        .offset:         24
        .size:           8
        .value_kind:     global_buffer
      - .actual_access:  read_only
        .address_space:  global
        .offset:         32
        .size:           8
        .value_kind:     global_buffer
      - .offset:         40
        .size:           8
        .value_kind:     by_value
      - .actual_access:  read_only
        .address_space:  global
        .offset:         48
        .size:           8
        .value_kind:     global_buffer
      - .actual_access:  read_only
        .address_space:  global
        .offset:         56
        .size:           8
        .value_kind:     global_buffer
      - .offset:         64
        .size:           4
        .value_kind:     by_value
      - .actual_access:  read_only
        .address_space:  global
        .offset:         72
        .size:           8
        .value_kind:     global_buffer
      - .actual_access:  read_only
        .address_space:  global
        .offset:         80
        .size:           8
        .value_kind:     global_buffer
      - .actual_access:  read_only
        .address_space:  global
        .offset:         88
        .size:           8
        .value_kind:     global_buffer
      - .actual_access:  write_only
        .address_space:  global
        .offset:         96
        .size:           8
        .value_kind:     global_buffer
    .group_segment_fixed_size: 0
    .kernarg_segment_align: 8
    .kernarg_segment_size: 104
    .language:       OpenCL C
    .language_version:
      - 2
      - 0
    .max_flat_workgroup_size: 108
    .name:           fft_rtc_fwd_len1296_factors_6_6_6_6_wgs_108_tpt_108_halfLds_dp_op_CI_CI_unitstride_sbrr_R2C_dirReg
    .private_segment_fixed_size: 0
    .sgpr_count:     32
    .sgpr_spill_count: 0
    .symbol:         fft_rtc_fwd_len1296_factors_6_6_6_6_wgs_108_tpt_108_halfLds_dp_op_CI_CI_unitstride_sbrr_R2C_dirReg.kd
    .uniform_work_group_size: 1
    .uses_dynamic_stack: false
    .vgpr_count:     82
    .vgpr_spill_count: 0
    .wavefront_size: 64
amdhsa.target:   amdgcn-amd-amdhsa--gfx906
amdhsa.version:
  - 1
  - 2
...

	.end_amdgpu_metadata
